;; amdgpu-corpus repo=ROCm/rocFFT kind=compiled arch=gfx906 opt=O3
	.text
	.amdgcn_target "amdgcn-amd-amdhsa--gfx906"
	.amdhsa_code_object_version 6
	.protected	fft_rtc_back_len90_factors_3_3_10_wgs_63_tpt_9_halfLds_half_ip_CI_unitstride_sbrr_dirReg ; -- Begin function fft_rtc_back_len90_factors_3_3_10_wgs_63_tpt_9_halfLds_half_ip_CI_unitstride_sbrr_dirReg
	.globl	fft_rtc_back_len90_factors_3_3_10_wgs_63_tpt_9_halfLds_half_ip_CI_unitstride_sbrr_dirReg
	.p2align	8
	.type	fft_rtc_back_len90_factors_3_3_10_wgs_63_tpt_9_halfLds_half_ip_CI_unitstride_sbrr_dirReg,@function
fft_rtc_back_len90_factors_3_3_10_wgs_63_tpt_9_halfLds_half_ip_CI_unitstride_sbrr_dirReg: ; @fft_rtc_back_len90_factors_3_3_10_wgs_63_tpt_9_halfLds_half_ip_CI_unitstride_sbrr_dirReg
; %bb.0:
	s_load_dwordx2 s[2:3], s[4:5], 0x50
	s_load_dwordx4 s[8:11], s[4:5], 0x0
	s_load_dwordx2 s[12:13], s[4:5], 0x18
	v_mul_u32_u24_e32 v1, 0x1c72, v0
	v_lshrrev_b32_e32 v1, 16, v1
	v_mad_u64_u32 v[5:6], s[0:1], s6, 7, v[1:2]
	v_mov_b32_e32 v3, 0
	s_waitcnt lgkmcnt(0)
	v_cmp_lt_u64_e64 s[0:1], s[10:11], 2
	v_mov_b32_e32 v6, v3
	v_mov_b32_e32 v1, 0
	;; [unrolled: 1-line block ×3, first 2 shown]
	s_and_b64 vcc, exec, s[0:1]
	v_mov_b32_e32 v2, 0
	v_mov_b32_e32 v8, v5
	s_cbranch_vccnz .LBB0_8
; %bb.1:
	s_load_dwordx2 s[0:1], s[4:5], 0x10
	s_add_u32 s6, s12, 8
	s_addc_u32 s7, s13, 0
	v_mov_b32_e32 v1, 0
	v_mov_b32_e32 v7, v6
	s_waitcnt lgkmcnt(0)
	s_add_u32 s16, s0, 8
	s_mov_b64 s[14:15], 1
	v_mov_b32_e32 v2, 0
	s_addc_u32 s17, s1, 0
	v_mov_b32_e32 v6, v5
.LBB0_2:                                ; =>This Inner Loop Header: Depth=1
	s_load_dwordx2 s[18:19], s[16:17], 0x0
                                        ; implicit-def: $vgpr8_vgpr9
	s_waitcnt lgkmcnt(0)
	v_or_b32_e32 v4, s19, v7
	v_cmp_ne_u64_e32 vcc, 0, v[3:4]
	s_and_saveexec_b64 s[0:1], vcc
	s_xor_b64 s[20:21], exec, s[0:1]
	s_cbranch_execz .LBB0_4
; %bb.3:                                ;   in Loop: Header=BB0_2 Depth=1
	v_cvt_f32_u32_e32 v4, s18
	v_cvt_f32_u32_e32 v8, s19
	s_sub_u32 s0, 0, s18
	s_subb_u32 s1, 0, s19
	v_mac_f32_e32 v4, 0x4f800000, v8
	v_rcp_f32_e32 v4, v4
	v_mul_f32_e32 v4, 0x5f7ffffc, v4
	v_mul_f32_e32 v8, 0x2f800000, v4
	v_trunc_f32_e32 v8, v8
	v_mac_f32_e32 v4, 0xcf800000, v8
	v_cvt_u32_f32_e32 v8, v8
	v_cvt_u32_f32_e32 v4, v4
	v_mul_lo_u32 v9, s0, v8
	v_mul_hi_u32 v10, s0, v4
	v_mul_lo_u32 v12, s1, v4
	v_mul_lo_u32 v11, s0, v4
	v_add_u32_e32 v9, v10, v9
	v_add_u32_e32 v9, v9, v12
	v_mul_hi_u32 v10, v4, v11
	v_mul_lo_u32 v12, v4, v9
	v_mul_hi_u32 v14, v4, v9
	v_mul_hi_u32 v13, v8, v11
	v_mul_lo_u32 v11, v8, v11
	v_mul_hi_u32 v15, v8, v9
	v_add_co_u32_e32 v10, vcc, v10, v12
	v_addc_co_u32_e32 v12, vcc, 0, v14, vcc
	v_mul_lo_u32 v9, v8, v9
	v_add_co_u32_e32 v10, vcc, v10, v11
	v_addc_co_u32_e32 v10, vcc, v12, v13, vcc
	v_addc_co_u32_e32 v11, vcc, 0, v15, vcc
	v_add_co_u32_e32 v9, vcc, v10, v9
	v_addc_co_u32_e32 v10, vcc, 0, v11, vcc
	v_add_co_u32_e32 v4, vcc, v4, v9
	v_addc_co_u32_e32 v8, vcc, v8, v10, vcc
	v_mul_lo_u32 v9, s0, v8
	v_mul_hi_u32 v10, s0, v4
	v_mul_lo_u32 v11, s1, v4
	v_mul_lo_u32 v12, s0, v4
	v_add_u32_e32 v9, v10, v9
	v_add_u32_e32 v9, v9, v11
	v_mul_lo_u32 v13, v4, v9
	v_mul_hi_u32 v14, v4, v12
	v_mul_hi_u32 v15, v4, v9
	;; [unrolled: 1-line block ×3, first 2 shown]
	v_mul_lo_u32 v12, v8, v12
	v_mul_hi_u32 v10, v8, v9
	v_add_co_u32_e32 v13, vcc, v14, v13
	v_addc_co_u32_e32 v14, vcc, 0, v15, vcc
	v_mul_lo_u32 v9, v8, v9
	v_add_co_u32_e32 v12, vcc, v13, v12
	v_addc_co_u32_e32 v11, vcc, v14, v11, vcc
	v_addc_co_u32_e32 v10, vcc, 0, v10, vcc
	v_add_co_u32_e32 v9, vcc, v11, v9
	v_addc_co_u32_e32 v10, vcc, 0, v10, vcc
	v_add_co_u32_e32 v4, vcc, v4, v9
	v_addc_co_u32_e32 v10, vcc, v8, v10, vcc
	v_mad_u64_u32 v[8:9], s[0:1], v6, v10, 0
	v_mul_hi_u32 v11, v6, v4
	v_add_co_u32_e32 v12, vcc, v11, v8
	v_addc_co_u32_e32 v13, vcc, 0, v9, vcc
	v_mad_u64_u32 v[8:9], s[0:1], v7, v4, 0
	v_mad_u64_u32 v[10:11], s[0:1], v7, v10, 0
	v_add_co_u32_e32 v4, vcc, v12, v8
	v_addc_co_u32_e32 v4, vcc, v13, v9, vcc
	v_addc_co_u32_e32 v8, vcc, 0, v11, vcc
	v_add_co_u32_e32 v4, vcc, v4, v10
	v_addc_co_u32_e32 v10, vcc, 0, v8, vcc
	v_mul_lo_u32 v11, s19, v4
	v_mul_lo_u32 v12, s18, v10
	v_mad_u64_u32 v[8:9], s[0:1], s18, v4, 0
	v_add3_u32 v9, v9, v12, v11
	v_sub_u32_e32 v11, v7, v9
	v_mov_b32_e32 v12, s19
	v_sub_co_u32_e32 v8, vcc, v6, v8
	v_subb_co_u32_e64 v11, s[0:1], v11, v12, vcc
	v_subrev_co_u32_e64 v12, s[0:1], s18, v8
	v_subbrev_co_u32_e64 v11, s[0:1], 0, v11, s[0:1]
	v_cmp_le_u32_e64 s[0:1], s19, v11
	v_cndmask_b32_e64 v13, 0, -1, s[0:1]
	v_cmp_le_u32_e64 s[0:1], s18, v12
	v_cndmask_b32_e64 v12, 0, -1, s[0:1]
	v_cmp_eq_u32_e64 s[0:1], s19, v11
	v_cndmask_b32_e64 v11, v13, v12, s[0:1]
	v_add_co_u32_e64 v12, s[0:1], 2, v4
	v_addc_co_u32_e64 v13, s[0:1], 0, v10, s[0:1]
	v_add_co_u32_e64 v14, s[0:1], 1, v4
	v_addc_co_u32_e64 v15, s[0:1], 0, v10, s[0:1]
	v_subb_co_u32_e32 v9, vcc, v7, v9, vcc
	v_cmp_ne_u32_e64 s[0:1], 0, v11
	v_cmp_le_u32_e32 vcc, s19, v9
	v_cndmask_b32_e64 v11, v15, v13, s[0:1]
	v_cndmask_b32_e64 v13, 0, -1, vcc
	v_cmp_le_u32_e32 vcc, s18, v8
	v_cndmask_b32_e64 v8, 0, -1, vcc
	v_cmp_eq_u32_e32 vcc, s19, v9
	v_cndmask_b32_e32 v8, v13, v8, vcc
	v_cmp_ne_u32_e32 vcc, 0, v8
	v_cndmask_b32_e64 v8, v14, v12, s[0:1]
	v_cndmask_b32_e32 v9, v10, v11, vcc
	v_cndmask_b32_e32 v8, v4, v8, vcc
.LBB0_4:                                ;   in Loop: Header=BB0_2 Depth=1
	s_andn2_saveexec_b64 s[0:1], s[20:21]
	s_cbranch_execz .LBB0_6
; %bb.5:                                ;   in Loop: Header=BB0_2 Depth=1
	v_cvt_f32_u32_e32 v4, s18
	s_sub_i32 s20, 0, s18
	v_rcp_iflag_f32_e32 v4, v4
	v_mul_f32_e32 v4, 0x4f7ffffe, v4
	v_cvt_u32_f32_e32 v4, v4
	v_mul_lo_u32 v8, s20, v4
	v_mul_hi_u32 v8, v4, v8
	v_add_u32_e32 v4, v4, v8
	v_mul_hi_u32 v4, v6, v4
	v_mul_lo_u32 v8, v4, s18
	v_add_u32_e32 v9, 1, v4
	v_sub_u32_e32 v8, v6, v8
	v_subrev_u32_e32 v10, s18, v8
	v_cmp_le_u32_e32 vcc, s18, v8
	v_cndmask_b32_e32 v8, v8, v10, vcc
	v_cndmask_b32_e32 v4, v4, v9, vcc
	v_add_u32_e32 v9, 1, v4
	v_cmp_le_u32_e32 vcc, s18, v8
	v_cndmask_b32_e32 v8, v4, v9, vcc
	v_mov_b32_e32 v9, v3
.LBB0_6:                                ;   in Loop: Header=BB0_2 Depth=1
	s_or_b64 exec, exec, s[0:1]
	v_mul_lo_u32 v4, v9, s18
	v_mul_lo_u32 v12, v8, s19
	v_mad_u64_u32 v[10:11], s[0:1], v8, s18, 0
	s_load_dwordx2 s[0:1], s[6:7], 0x0
	s_add_u32 s14, s14, 1
	v_add3_u32 v4, v11, v12, v4
	v_sub_co_u32_e32 v6, vcc, v6, v10
	v_subb_co_u32_e32 v4, vcc, v7, v4, vcc
	s_waitcnt lgkmcnt(0)
	v_mul_lo_u32 v4, s0, v4
	v_mul_lo_u32 v7, s1, v6
	v_mad_u64_u32 v[1:2], s[0:1], s0, v6, v[1:2]
	s_addc_u32 s15, s15, 0
	s_add_u32 s6, s6, 8
	v_add3_u32 v2, v7, v2, v4
	v_mov_b32_e32 v6, s10
	v_mov_b32_e32 v7, s11
	s_addc_u32 s7, s7, 0
	v_cmp_ge_u64_e32 vcc, s[14:15], v[6:7]
	s_add_u32 s16, s16, 8
	s_addc_u32 s17, s17, 0
	s_cbranch_vccnz .LBB0_8
; %bb.7:                                ;   in Loop: Header=BB0_2 Depth=1
	v_mov_b32_e32 v6, v8
	v_mov_b32_e32 v7, v9
	s_branch .LBB0_2
.LBB0_8:
	s_lshl_b64 s[0:1], s[10:11], 3
	s_add_u32 s0, s12, s0
	s_addc_u32 s1, s13, s1
	s_load_dwordx2 s[6:7], s[0:1], 0x0
	s_load_dwordx2 s[10:11], s[4:5], 0x20
                                        ; implicit-def: $vgpr27
                                        ; implicit-def: $vgpr20
                                        ; implicit-def: $vgpr25
                                        ; implicit-def: $vgpr17
                                        ; implicit-def: $vgpr23
                                        ; implicit-def: $vgpr31
                                        ; implicit-def: $vgpr19
                                        ; implicit-def: $vgpr32
                                        ; implicit-def: $vgpr30
                                        ; implicit-def: $vgpr11
                                        ; implicit-def: $vgpr34
                                        ; implicit-def: $vgpr24
                                        ; implicit-def: $vgpr35
                                        ; implicit-def: $vgpr26
                                        ; implicit-def: $vgpr33
                                        ; implicit-def: $vgpr12
                                        ; implicit-def: $vgpr37
                                        ; implicit-def: $vgpr28
                                        ; implicit-def: $vgpr38
                                        ; implicit-def: $vgpr29
                                        ; implicit-def: $vgpr36
                                        ; implicit-def: $vgpr13
	s_waitcnt lgkmcnt(0)
	v_mad_u64_u32 v[1:2], s[0:1], s6, v8, v[1:2]
	s_mov_b32 s0, 0x1c71c71d
	v_mul_lo_u32 v3, s6, v9
	v_mul_lo_u32 v4, s7, v8
	v_mul_hi_u32 v6, v0, s0
	v_cmp_gt_u64_e32 vcc, s[10:11], v[8:9]
                                        ; implicit-def: $vgpr8
	v_add3_u32 v2, v4, v2, v3
	v_mul_u32_u24_e32 v3, 9, v6
	v_sub_u32_e32 v3, v0, v3
	v_lshlrev_b64 v[0:1], 2, v[1:2]
	v_mov_b32_e32 v2, 0
                                        ; implicit-def: $vgpr4
	s_and_saveexec_b64 s[4:5], vcc
	s_cbranch_execz .LBB0_12
; %bb.9:
	v_mov_b32_e32 v4, 0
	v_mov_b32_e32 v2, s3
	v_add_co_u32_e64 v8, s[0:1], s2, v0
	v_lshlrev_b64 v[6:7], 2, v[3:4]
	v_addc_co_u32_e64 v2, s[0:1], v2, v1, s[0:1]
	v_add_co_u32_e64 v6, s[0:1], v8, v6
	v_addc_co_u32_e64 v7, s[0:1], v2, v7, s[0:1]
	global_load_dword v13, v[6:7], off
	global_load_dword v12, v[6:7], off offset:36
	global_load_dword v26, v[6:7], off offset:156
	;; [unrolled: 1-line block ×8, first 2 shown]
	v_cmp_gt_u32_e64 s[0:1], 3, v3
                                        ; implicit-def: $vgpr4
                                        ; implicit-def: $vgpr23
                                        ; implicit-def: $vgpr17
                                        ; implicit-def: $vgpr25
                                        ; implicit-def: $vgpr20
                                        ; implicit-def: $vgpr27
	s_and_saveexec_b64 s[6:7], s[0:1]
	s_cbranch_execz .LBB0_11
; %bb.10:
	global_load_dword v4, v[6:7], off offset:108
	global_load_dword v17, v[6:7], off offset:228
	;; [unrolled: 1-line block ×3, first 2 shown]
	s_waitcnt vmcnt(2)
	v_lshrrev_b32_e32 v23, 16, v4
	s_waitcnt vmcnt(1)
	v_lshrrev_b32_e32 v25, 16, v17
	;; [unrolled: 2-line block ×3, first 2 shown]
.LBB0_11:
	s_or_b64 exec, exec, s[6:7]
	s_waitcnt vmcnt(8)
	v_lshrrev_b32_e32 v36, 16, v13
	s_waitcnt vmcnt(2)
	v_lshrrev_b32_e32 v38, 16, v29
	v_lshrrev_b32_e32 v37, 16, v28
	;; [unrolled: 1-line block ×5, first 2 shown]
	s_waitcnt vmcnt(1)
	v_lshrrev_b32_e32 v30, 16, v11
	v_lshrrev_b32_e32 v32, 16, v8
	s_waitcnt vmcnt(0)
	v_lshrrev_b32_e32 v31, 16, v19
	v_mov_b32_e32 v2, v3
.LBB0_12:
	s_or_b64 exec, exec, s[4:5]
	s_mov_b32 s0, 0x24924925
	v_mul_hi_u32 v6, v5, s0
	v_add_f16_e32 v7, v28, v29
	v_sub_f16_e32 v9, v38, v37
	s_mov_b32 s0, 0xbaee
	v_sub_u32_e32 v10, v5, v6
	v_lshrrev_b32_e32 v10, 1, v10
	v_add_u32_e32 v6, v10, v6
	v_lshrrev_b32_e32 v6, 2, v6
	v_mul_lo_u32 v6, v6, 7
	s_movk_i32 s1, 0x3aee
	v_fma_f16 v7, v7, -0.5, v13
	v_fma_f16 v14, v9, s0, v7
	v_sub_u32_e32 v5, v5, v6
	v_add_f16_e32 v6, v24, v26
	v_fma_f16 v7, v9, s1, v7
	v_fma_f16 v6, v6, -0.5, v12
	v_sub_f16_e32 v9, v35, v34
	v_fma_f16 v15, v9, s0, v6
	v_fma_f16 v16, v9, s1, v6
	v_add_f16_e32 v6, v19, v8
	v_fma_f16 v6, v6, -0.5, v11
	v_sub_f16_e32 v9, v32, v31
	v_fma_f16 v18, v9, s0, v6
	v_fma_f16 v21, v9, s1, v6
	v_add_f16_e32 v6, v20, v17
	v_fma_f16 v6, v6, -0.5, v4
	v_sub_f16_e32 v9, v25, v27
	v_fma_f16 v10, v9, s0, v6
	v_fma_f16 v9, v9, s1, v6
	v_mul_u32_u24_e32 v5, 0x5a, v5
	v_add_f16_e32 v6, v29, v13
	v_add_f16_e32 v13, v28, v6
	v_mad_u32_u24 v22, v3, 6, 0
	v_lshlrev_b32_e32 v6, 1, v5
	v_add_u32_e32 v39, v22, v6
	ds_write_b16 v39, v13
	ds_write_b16 v39, v14 offset:2
	ds_write_b16 v39, v7 offset:4
	v_add_f16_e32 v7, v26, v12
	v_add_f16_e32 v7, v24, v7
	ds_write_b16 v39, v7 offset:54
	ds_write_b16 v39, v15 offset:56
	;; [unrolled: 1-line block ×3, first 2 shown]
	v_add_f16_e32 v7, v8, v11
	v_add_u32_e32 v11, 0x6c, v22
	v_add_f16_e32 v7, v19, v7
	v_add_u32_e32 v40, v11, v6
	v_add_f16_e32 v4, v17, v4
	ds_write_b16 v40, v7
	v_add_f16_e32 v7, v20, v4
	v_cmp_gt_u32_e64 s[0:1], 3, v3
	ds_write_b16 v40, v18 offset:2
	ds_write_b16 v40, v21 offset:4
	s_and_saveexec_b64 s[4:5], s[0:1]
	s_cbranch_execz .LBB0_14
; %bb.13:
	v_lshl_add_u32 v4, v5, 1, v11
	ds_write_b16 v4, v7 offset:54
	ds_write_b16 v4, v10 offset:56
	;; [unrolled: 1-line block ×3, first 2 shown]
.LBB0_14:
	s_or_b64 exec, exec, s[4:5]
	v_lshlrev_b32_e32 v5, 1, v3
	v_add3_u32 v4, 0, v6, v5
	s_waitcnt lgkmcnt(0)
	; wave barrier
	s_waitcnt lgkmcnt(0)
	v_add3_u32 v5, 0, v5, v6
	ds_read_u16 v13, v4
	ds_read_u16 v12, v5 offset:18
	ds_read_u16 v11, v5 offset:36
	;; [unrolled: 1-line block ×8, first 2 shown]
	v_add_u32_e32 v41, 54, v39
	s_and_saveexec_b64 s[4:5], s[0:1]
	s_cbranch_execz .LBB0_16
; %bb.15:
	ds_read_u16 v7, v5 offset:54
	ds_read_u16 v10, v5 offset:114
	;; [unrolled: 1-line block ×3, first 2 shown]
.LBB0_16:
	s_or_b64 exec, exec, s[4:5]
	v_add_f16_e32 v42, v38, v36
	v_add_f16_e32 v42, v37, v42
	;; [unrolled: 1-line block ×3, first 2 shown]
	v_fma_f16 v36, v37, -0.5, v36
	v_sub_f16_e32 v28, v29, v28
	s_movk_i32 s4, 0x3aee
	s_mov_b32 s5, 0xbaee
	v_fma_f16 v29, v28, s4, v36
	v_fma_f16 v28, v28, s5, v36
	v_add_f16_e32 v36, v35, v33
	v_add_f16_e32 v36, v34, v36
	;; [unrolled: 1-line block ×3, first 2 shown]
	v_fma_f16 v33, v34, -0.5, v33
	v_sub_f16_e32 v24, v26, v24
	v_fma_f16 v26, v24, s4, v33
	v_fma_f16 v33, v24, s5, v33
	v_add_f16_e32 v24, v32, v30
	v_add_f16_e32 v34, v31, v24
	;; [unrolled: 1-line block ×3, first 2 shown]
	v_fma_f16 v24, v24, -0.5, v30
	v_sub_f16_e32 v8, v8, v19
	v_fma_f16 v19, v8, s4, v24
	v_fma_f16 v30, v8, s5, v24
	v_add_f16_e32 v24, v27, v25
	v_add_f16_e32 v8, v25, v23
	v_fma_f16 v23, v24, -0.5, v23
	v_sub_f16_e32 v17, v17, v20
	v_add_f16_e32 v8, v27, v8
	v_fma_f16 v24, v17, s4, v23
	v_fma_f16 v23, v17, s5, v23
	v_add_u32_e32 v25, 27, v3
	s_waitcnt lgkmcnt(0)
	; wave barrier
	s_waitcnt lgkmcnt(0)
	ds_write_b16 v39, v42
	ds_write_b16 v39, v29 offset:2
	ds_write_b16 v39, v28 offset:4
	ds_write_b16 v41, v36
	ds_write_b16 v41, v26 offset:2
	ds_write_b16 v41, v33 offset:4
	;; [unrolled: 3-line block ×3, first 2 shown]
	s_and_saveexec_b64 s[4:5], s[0:1]
	s_cbranch_execz .LBB0_18
; %bb.17:
	v_mul_u32_u24_e32 v17, 6, v25
	v_add3_u32 v17, 0, v17, v6
	ds_write_b16 v17, v8
	ds_write_b16 v17, v24 offset:2
	ds_write_b16 v17, v23 offset:4
.LBB0_18:
	s_or_b64 exec, exec, s[4:5]
	s_waitcnt lgkmcnt(0)
	; wave barrier
	s_waitcnt lgkmcnt(0)
	ds_read_u16 v20, v4
	ds_read_u16 v19, v5 offset:18
	ds_read_u16 v17, v5 offset:36
	;; [unrolled: 1-line block ×8, first 2 shown]
	s_and_saveexec_b64 s[4:5], s[0:1]
	s_cbranch_execz .LBB0_20
; %bb.19:
	ds_read_u16 v8, v5 offset:54
	ds_read_u16 v24, v5 offset:114
	;; [unrolled: 1-line block ×3, first 2 shown]
.LBB0_20:
	s_or_b64 exec, exec, s[4:5]
	s_movk_i32 s4, 0xab
	v_add_u16_e32 v37, 9, v3
	v_mul_lo_u16_sdwa v32, v3, s4 dst_sel:DWORD dst_unused:UNUSED_PAD src0_sel:BYTE_0 src1_sel:DWORD
	v_add_u16_e32 v39, 18, v3
	v_mul_lo_u16_sdwa v36, v37, s4 dst_sel:DWORD dst_unused:UNUSED_PAD src0_sel:BYTE_0 src1_sel:DWORD
	v_lshrrev_b16_e32 v32, 9, v32
	v_lshrrev_b16_e32 v43, 9, v36
	v_mul_lo_u16_sdwa v40, v39, s4 dst_sel:DWORD dst_unused:UNUSED_PAD src0_sel:BYTE_0 src1_sel:DWORD
	v_mul_lo_u16_sdwa v41, v25, s4 dst_sel:DWORD dst_unused:UNUSED_PAD src0_sel:BYTE_0 src1_sel:DWORD
	v_mul_lo_u16_e32 v33, 3, v32
	v_mul_lo_u16_e32 v38, 3, v43
	v_lshrrev_b16_e32 v45, 9, v40
	v_lshrrev_b16_e32 v41, 9, v41
	v_sub_u16_e32 v34, v3, v33
	v_mov_b32_e32 v33, 3
	v_sub_u16_e32 v44, v37, v38
	v_mul_lo_u16_e32 v40, 3, v45
	v_mul_lo_u16_e32 v41, 3, v41
	v_lshlrev_b32_sdwa v35, v33, v34 dst_sel:DWORD dst_unused:UNUSED_PAD src0_sel:DWORD src1_sel:BYTE_0
	v_lshlrev_b32_sdwa v37, v33, v44 dst_sel:DWORD dst_unused:UNUSED_PAD src0_sel:DWORD src1_sel:BYTE_0
	v_sub_u16_e32 v46, v39, v40
	v_sub_u16_e32 v25, v25, v41
	global_load_dwordx2 v[35:36], v35, s[8:9]
	v_lshlrev_b32_sdwa v39, v33, v46 dst_sel:DWORD dst_unused:UNUSED_PAD src0_sel:DWORD src1_sel:BYTE_0
	global_load_dwordx2 v[37:38], v37, s[8:9]
	v_lshlrev_b32_sdwa v33, v33, v25 dst_sel:DWORD dst_unused:UNUSED_PAD src0_sel:DWORD src1_sel:BYTE_0
	global_load_dwordx2 v[39:40], v39, s[8:9]
	v_mad_u32_u24 v32, v32, 18, 0
	global_load_dwordx2 v[41:42], v33, s[8:9]
	v_mov_b32_e32 v33, 1
	v_lshlrev_b32_sdwa v34, v33, v34 dst_sel:DWORD dst_unused:UNUSED_PAD src0_sel:DWORD src1_sel:BYTE_0
	v_add3_u32 v32, v32, v34, v6
	s_mov_b32 s6, 0xbaee
	s_movk_i32 s7, 0x3aee
	v_lshlrev_b32_sdwa v44, v33, v44 dst_sel:DWORD dst_unused:UNUSED_PAD src0_sel:DWORD src1_sel:BYTE_0
	s_waitcnt lgkmcnt(0)
	; wave barrier
	s_waitcnt lgkmcnt(0)
	v_lshlrev_b32_sdwa v46, v33, v46 dst_sel:DWORD dst_unused:UNUSED_PAD src0_sel:DWORD src1_sel:BYTE_0
	s_waitcnt vmcnt(3)
	v_mul_f16_sdwa v34, v31, v35 dst_sel:DWORD dst_unused:UNUSED_PAD src0_sel:DWORD src1_sel:WORD_1
	v_mul_f16_sdwa v47, v22, v35 dst_sel:DWORD dst_unused:UNUSED_PAD src0_sel:DWORD src1_sel:WORD_1
	;; [unrolled: 1-line block ×3, first 2 shown]
	s_waitcnt vmcnt(2)
	v_mul_f16_sdwa v51, v18, v37 dst_sel:DWORD dst_unused:UNUSED_PAD src0_sel:DWORD src1_sel:WORD_1
	v_mul_f16_sdwa v49, v21, v36 dst_sel:DWORD dst_unused:UNUSED_PAD src0_sel:DWORD src1_sel:WORD_1
	;; [unrolled: 1-line block ×4, first 2 shown]
	v_fma_f16 v34, v22, v35, v34
	v_mul_f16_sdwa v22, v16, v38 dst_sel:DWORD dst_unused:UNUSED_PAD src0_sel:DWORD src1_sel:WORD_1
	v_fma_f16 v31, v31, v35, -v47
	v_fma_f16 v35, v21, v36, v48
	s_waitcnt vmcnt(1)
	v_mul_f16_sdwa v21, v15, v39 dst_sel:DWORD dst_unused:UNUSED_PAD src0_sel:DWORD src1_sel:WORD_1
	s_waitcnt vmcnt(0)
	v_mul_f16_sdwa v53, v24, v41 dst_sel:DWORD dst_unused:UNUSED_PAD src0_sel:DWORD src1_sel:WORD_1
	v_fma_f16 v29, v29, v37, -v51
	v_mul_f16_sdwa v51, v23, v42 dst_sel:DWORD dst_unused:UNUSED_PAD src0_sel:DWORD src1_sel:WORD_1
	v_fma_f16 v36, v30, v36, -v49
	v_fma_f16 v30, v18, v37, v50
	v_mul_f16_sdwa v50, v10, v41 dst_sel:DWORD dst_unused:UNUSED_PAD src0_sel:DWORD src1_sel:WORD_1
	v_fma_f16 v16, v16, v38, v52
	v_mul_f16_sdwa v52, v9, v42 dst_sel:DWORD dst_unused:UNUSED_PAD src0_sel:DWORD src1_sel:WORD_1
	v_fma_f16 v37, v27, v38, -v22
	v_fma_f16 v27, v28, v39, -v21
	v_fma_f16 v18, v10, v41, v53
	v_fma_f16 v21, v9, v42, v51
	v_add_f16_e32 v9, v13, v34
	v_add_f16_e32 v10, v34, v35
	v_mul_f16_sdwa v47, v28, v39 dst_sel:DWORD dst_unused:UNUSED_PAD src0_sel:DWORD src1_sel:WORD_1
	v_mul_f16_sdwa v48, v26, v40 dst_sel:DWORD dst_unused:UNUSED_PAD src0_sel:DWORD src1_sel:WORD_1
	v_fma_f16 v22, v24, v41, -v50
	v_sub_f16_e32 v24, v31, v36
	v_add_f16_e32 v28, v12, v30
	v_fma_f16 v10, v10, -0.5, v13
	v_add_f16_e32 v9, v9, v35
	v_mul_f16_sdwa v49, v14, v40 dst_sel:DWORD dst_unused:UNUSED_PAD src0_sel:DWORD src1_sel:WORD_1
	v_fma_f16 v15, v15, v39, v47
	v_fma_f16 v14, v14, v40, v48
	v_add_f16_e32 v13, v28, v16
	v_fma_f16 v28, v24, s6, v10
	v_fma_f16 v10, v24, s7, v10
	ds_write_b16 v32, v9
	ds_write_b16 v32, v28 offset:6
	ds_write_b16 v32, v10 offset:12
	v_mad_u32_u24 v9, v43, 18, 0
	v_fma_f16 v26, v26, v40, -v49
	v_add_f16_e32 v38, v30, v16
	v_add_f16_e32 v40, v11, v15
	;; [unrolled: 1-line block ×3, first 2 shown]
	v_add3_u32 v24, v9, v44, v6
	v_mad_u32_u24 v9, v45, 18, 0
	v_fma_f16 v23, v23, v42, -v52
	v_sub_f16_e32 v39, v29, v37
	v_sub_f16_e32 v42, v27, v26
	v_fma_f16 v12, v38, -0.5, v12
	v_add_f16_e32 v38, v40, v14
	v_fma_f16 v11, v41, -0.5, v11
	v_add3_u32 v28, v9, v46, v6
	v_fma_f16 v40, v39, s6, v12
	v_fma_f16 v12, v39, s7, v12
	;; [unrolled: 1-line block ×4, first 2 shown]
	ds_write_b16 v24, v13
	ds_write_b16 v24, v40 offset:6
	ds_write_b16 v24, v12 offset:12
	ds_write_b16 v28, v38
	ds_write_b16 v28, v39 offset:6
	ds_write_b16 v28, v11 offset:12
	s_and_saveexec_b64 s[4:5], s[0:1]
	s_cbranch_execz .LBB0_22
; %bb.21:
	v_add_f16_e32 v10, v18, v21
	v_lshlrev_b32_sdwa v9, v33, v25 dst_sel:DWORD dst_unused:UNUSED_PAD src0_sel:DWORD src1_sel:BYTE_0
	v_fma_f16 v10, v10, -0.5, v7
	v_add_f16_e32 v7, v7, v18
	v_add3_u32 v9, 0, v9, v6
	v_sub_f16_e32 v11, v22, v23
	v_add_f16_e32 v7, v7, v21
	v_fma_f16 v12, v11, s7, v10
	v_fma_f16 v10, v11, s6, v10
	ds_write_b16 v9, v7 offset:162
	ds_write_b16 v9, v10 offset:168
	;; [unrolled: 1-line block ×3, first 2 shown]
.LBB0_22:
	s_or_b64 exec, exec, s[4:5]
	v_add_f16_e32 v7, v20, v31
	v_add_f16_e32 v33, v7, v36
	v_add_f16_e32 v7, v31, v36
	v_fma_f16 v7, v7, -0.5, v20
	v_sub_f16_e32 v9, v34, v35
	v_fma_f16 v20, v9, s7, v7
	v_fma_f16 v31, v9, s6, v7
	v_add_f16_e32 v7, v19, v29
	v_add_f16_e32 v34, v7, v37
	v_add_f16_e32 v7, v29, v37
	v_fma_f16 v7, v7, -0.5, v19
	v_sub_f16_e32 v9, v30, v16
	v_fma_f16 v19, v9, s7, v7
	v_fma_f16 v29, v9, s6, v7
	;; [unrolled: 7-line block ×3, first 2 shown]
	s_waitcnt lgkmcnt(0)
	; wave barrier
	s_waitcnt lgkmcnt(0)
	ds_read_u16 v7, v4
	ds_read_u16 v9, v5 offset:18
	ds_read_u16 v16, v5 offset:36
	ds_read_u16 v12, v5 offset:54
	ds_read_u16 v13, v5 offset:72
	ds_read_u16 v10, v5 offset:90
	ds_read_u16 v15, v5 offset:108
	ds_read_u16 v11, v5 offset:126
	ds_read_u16 v17, v5 offset:144
	ds_read_u16 v14, v5 offset:162
	s_waitcnt lgkmcnt(0)
	; wave barrier
	s_waitcnt lgkmcnt(0)
	ds_write_b16 v32, v33
	ds_write_b16 v32, v20 offset:6
	ds_write_b16 v32, v31 offset:12
	ds_write_b16 v24, v34
	ds_write_b16 v24, v19 offset:6
	ds_write_b16 v24, v29 offset:12
	;; [unrolled: 3-line block ×3, first 2 shown]
	s_and_saveexec_b64 s[4:5], s[0:1]
	s_cbranch_execz .LBB0_24
; %bb.23:
	v_add_f16_e32 v20, v22, v23
	v_add_f16_e32 v19, v8, v22
	v_fma_f16 v8, v20, -0.5, v8
	v_sub_f16_e32 v18, v18, v21
	s_movk_i32 s0, 0x3aee
	v_fma_f16 v20, v18, s0, v8
	s_mov_b32 s0, 0xbaee
	v_fma_f16 v8, v18, s0, v8
	v_mov_b32_e32 v18, 1
	v_lshlrev_b32_sdwa v18, v18, v25 dst_sel:DWORD dst_unused:UNUSED_PAD src0_sel:DWORD src1_sel:BYTE_0
	v_add_f16_e32 v19, v19, v23
	v_add3_u32 v6, 0, v18, v6
	ds_write_b16 v6, v19 offset:162
	ds_write_b16 v6, v20 offset:168
	ds_write_b16 v6, v8 offset:174
.LBB0_24:
	s_or_b64 exec, exec, s[4:5]
	s_waitcnt lgkmcnt(0)
	; wave barrier
	s_waitcnt lgkmcnt(0)
	s_and_saveexec_b64 s[0:1], vcc
	s_cbranch_execz .LBB0_26
; %bb.25:
	v_mul_u32_u24_e32 v3, 9, v3
	v_lshlrev_b32_e32 v3, 2, v3
	global_load_dwordx4 v[18:21], v3, s[8:9] offset:24
	global_load_dwordx4 v[22:25], v3, s[8:9] offset:40
	global_load_dword v6, v3, s[8:9] offset:56
	ds_read_u16 v3, v5 offset:54
	ds_read_u16 v8, v5 offset:72
	;; [unrolled: 1-line block ×9, first 2 shown]
	ds_read_u16 v4, v4
	s_mov_b32 s5, 0xbb9c
	s_movk_i32 s6, 0x3b9c
	s_mov_b32 s1, 0xb8b4
	s_movk_i32 s4, 0x38b4
	s_movk_i32 s0, 0x34f2
	s_mov_b32 s7, 0xba79
	s_mov_b32 s8, 0xb4f2
	s_waitcnt vmcnt(2)
	v_lshrrev_b32_e32 v32, 16, v20
	v_mul_f16_sdwa v33, v16, v19 dst_sel:DWORD dst_unused:UNUSED_PAD src0_sel:DWORD src1_sel:WORD_1
	v_mul_f16_sdwa v34, v13, v21 dst_sel:DWORD dst_unused:UNUSED_PAD src0_sel:DWORD src1_sel:WORD_1
	s_waitcnt vmcnt(1)
	v_lshrrev_b32_e32 v35, 16, v22
	s_waitcnt lgkmcnt(2)
	v_mul_f16_sdwa v36, v31, v19 dst_sel:DWORD dst_unused:UNUSED_PAD src0_sel:DWORD src1_sel:WORD_1
	v_mul_f16_sdwa v37, v17, v25 dst_sel:DWORD dst_unused:UNUSED_PAD src0_sel:DWORD src1_sel:WORD_1
	;; [unrolled: 1-line block ×4, first 2 shown]
	s_waitcnt vmcnt(0)
	v_lshrrev_b32_e32 v43, 16, v6
	v_lshrrev_b32_e32 v46, 16, v24
	;; [unrolled: 1-line block ×3, first 2 shown]
	v_mul_f16_sdwa v40, v8, v21 dst_sel:DWORD dst_unused:UNUSED_PAD src0_sel:DWORD src1_sel:WORD_1
	v_mul_f16_sdwa v41, v27, v23 dst_sel:DWORD dst_unused:UNUSED_PAD src0_sel:DWORD src1_sel:WORD_1
	v_mul_f16_e32 v42, v12, v20
	v_mul_f16_e32 v44, v14, v6
	;; [unrolled: 1-line block ×5, first 2 shown]
	v_fma_f16 v31, v31, v19, -v33
	v_fma_f16 v16, v16, v19, v36
	v_fma_f16 v19, v29, v25, -v37
	v_fma_f16 v17, v17, v25, v38
	v_fma_f16 v8, v8, v21, -v34
	v_fma_f16 v25, v27, v23, -v39
	v_mul_f16_e32 v12, v12, v32
	v_mul_f16_e32 v14, v14, v43
	;; [unrolled: 1-line block ×5, first 2 shown]
	v_fma_f16 v13, v13, v21, v40
	v_fma_f16 v15, v15, v23, v41
	;; [unrolled: 1-line block ×3, first 2 shown]
	s_waitcnt lgkmcnt(1)
	v_fma_f16 v32, v5, v48, v49
	v_fma_f16 v10, v28, v22, -v10
	v_fma_f16 v11, v26, v24, -v11
	;; [unrolled: 1-line block ×5, first 2 shown]
	v_sub_f16_e32 v9, v8, v31
	v_sub_f16_e32 v14, v25, v19
	v_add_f16_e32 v18, v31, v19
	v_fma_f16 v23, v30, v43, v44
	v_fma_f16 v27, v28, v35, v45
	v_fma_f16 v29, v26, v46, v47
	v_sub_f16_e32 v28, v13, v15
	v_sub_f16_e32 v35, v3, v10
	v_add_f16_e32 v9, v9, v14
	v_sub_f16_e32 v14, v6, v11
	s_waitcnt lgkmcnt(0)
	v_fma_f16 v18, v18, -0.5, v4
	v_sub_f16_e32 v26, v16, v17
	v_sub_f16_e32 v33, v21, v27
	;; [unrolled: 1-line block ×3, first 2 shown]
	v_add_f16_e32 v34, v21, v23
	v_add_f16_e32 v14, v35, v14
	v_fma_f16 v35, v28, s6, v18
	v_fma_f16 v18, v28, s5, v18
	v_sub_f16_e32 v22, v31, v8
	v_sub_f16_e32 v24, v19, v25
	v_add_f16_e32 v12, v33, v12
	v_sub_f16_e32 v33, v10, v11
	v_fma_f16 v35, v26, s1, v35
	v_fma_f16 v34, v34, -0.5, v32
	v_fma_f16 v18, v26, s4, v18
	v_sub_f16_e32 v20, v27, v21
	v_sub_f16_e32 v30, v29, v23
	v_add_f16_e32 v22, v22, v24
	v_sub_f16_e32 v24, v3, v6
	v_fma_f16 v35, v9, s0, v35
	v_fma_f16 v9, v9, s0, v18
	;; [unrolled: 1-line block ×4, first 2 shown]
	v_add_f16_e32 v20, v20, v30
	v_fma_f16 v18, v24, s4, v18
	v_fma_f16 v34, v24, s1, v34
	;; [unrolled: 1-line block ×4, first 2 shown]
	v_add_f16_e32 v34, v3, v6
	v_sub_f16_e32 v30, v10, v3
	v_sub_f16_e32 v36, v11, v6
	v_fma_f16 v34, v34, -0.5, v5
	v_sub_f16_e32 v37, v27, v29
	v_add_f16_e32 v30, v30, v36
	v_sub_f16_e32 v36, v21, v23
	v_fma_f16 v38, v37, s6, v34
	v_fma_f16 v34, v37, s5, v34
	v_fma_f16 v38, v36, s1, v38
	v_fma_f16 v34, v36, s4, v34
	v_fma_f16 v38, v30, s0, v38
	v_fma_f16 v30, v30, s0, v34
	v_add_f16_e32 v34, v8, v25
	v_fma_f16 v34, v34, -0.5, v4
	v_fma_f16 v39, v26, s5, v34
	v_fma_f16 v26, v26, s6, v34
	v_fma_f16 v34, v28, s1, v39
	v_fma_f16 v26, v28, s4, v26
	v_fma_f16 v28, v22, s0, v34
	v_fma_f16 v22, v22, s0, v26
	v_add_f16_e32 v26, v27, v29
	v_fma_f16 v26, v26, -0.5, v32
	;; [unrolled: 8-line block ×3, first 2 shown]
	v_fma_f16 v33, v36, s5, v24
	v_fma_f16 v24, v36, s6, v24
	;; [unrolled: 1-line block ×3, first 2 shown]
	v_add_f16_e32 v4, v31, v4
	v_fma_f16 v24, v37, s4, v24
	v_fma_f16 v33, v14, s0, v33
	v_add_f16_e32 v4, v8, v4
	v_fma_f16 v14, v14, s0, v24
	v_mul_f16_e32 v24, 0xba79, v33
	v_add_f16_e32 v4, v25, v4
	v_sub_f16_e32 v8, v8, v25
	v_mul_f16_e32 v25, 0xb8b4, v33
	v_fma_f16 v24, v26, s4, v24
	v_fma_f16 v25, v26, s7, v25
	v_sub_f16_e32 v26, v13, v16
	v_sub_f16_e32 v33, v15, v17
	v_add_f16_e32 v3, v3, v5
	v_add_f16_e32 v26, v26, v33
	;; [unrolled: 1-line block ×4, first 2 shown]
	v_mul_f16_e32 v10, 0xb4f2, v38
	v_fma_f16 v33, v33, -0.5, v7
	v_mul_f16_e32 v34, 0xbb9c, v38
	v_fma_f16 v10, v18, s6, v10
	v_add_f16_e32 v4, v19, v4
	v_sub_f16_e32 v19, v31, v19
	v_fma_f16 v18, v18, s8, v34
	v_fma_f16 v34, v8, s5, v33
	;; [unrolled: 1-line block ×7, first 2 shown]
	v_add_f16_e32 v33, v13, v15
	v_add_f16_e32 v3, v11, v3
	v_mul_f16_e32 v31, 0x34f2, v30
	v_fma_f16 v33, v33, -0.5, v7
	v_mul_f16_e32 v30, 0xbb9c, v30
	v_add_f16_e32 v7, v7, v16
	v_add_f16_e32 v21, v21, v32
	;; [unrolled: 1-line block ×3, first 2 shown]
	v_sub_f16_e32 v6, v16, v13
	v_sub_f16_e32 v11, v17, v15
	v_fma_f16 v31, v20, s6, v31
	v_fma_f16 v20, v20, s0, v30
	;; [unrolled: 1-line block ×4, first 2 shown]
	v_add_f16_e32 v7, v7, v13
	v_add_f16_e32 v21, v27, v21
	;; [unrolled: 1-line block ×3, first 2 shown]
	s_movk_i32 s5, 0x3a79
	v_fma_f16 v30, v8, s4, v30
	v_fma_f16 v8, v8, s1, v19
	v_mul_f16_e32 v19, 0x3a79, v14
	v_mul_f16_e32 v14, 0xb8b4, v14
	v_add_f16_e32 v7, v7, v15
	v_add_f16_e32 v21, v29, v21
	v_fma_f16 v19, v12, s4, v19
	v_fma_f16 v30, v6, s0, v30
	;; [unrolled: 1-line block ×4, first 2 shown]
	v_add_f16_e32 v7, v17, v7
	v_add_f16_e32 v21, v23, v21
	v_sub_f16_e32 v14, v4, v3
	v_sub_f16_e32 v17, v6, v12
	;; [unrolled: 1-line block ×3, first 2 shown]
	v_add_f16_e32 v4, v4, v3
	v_add_f16_e32 v6, v6, v12
	;; [unrolled: 1-line block ×3, first 2 shown]
	v_mov_b32_e32 v3, 0
	v_mov_b32_e32 v12, s3
	v_add_co_u32_e32 v21, vcc, s2, v0
	v_addc_co_u32_e32 v12, vcc, v12, v1, vcc
	v_lshlrev_b64 v[0:1], 2, v[2:3]
	v_sub_f16_e32 v8, v22, v19
	v_add_co_u32_e32 v0, vcc, v21, v0
	v_add_f16_e32 v19, v22, v19
	v_addc_co_u32_e32 v1, vcc, v12, v1, vcc
	v_pack_b32_f16 v2, v7, v4
	v_sub_f16_e32 v33, v9, v31
	v_sub_f16_e32 v15, v26, v20
	v_add_f16_e32 v9, v9, v31
	v_add_f16_e32 v20, v26, v20
	global_store_dword v[0:1], v2, off
	v_pack_b32_f16 v2, v6, v19
	v_sub_f16_e32 v11, v35, v10
	v_sub_f16_e32 v13, v34, v18
	v_add_f16_e32 v10, v35, v10
	v_add_f16_e32 v18, v34, v18
	global_store_dword v[0:1], v2, off offset:36
	v_pack_b32_f16 v2, v20, v9
	v_sub_f16_e32 v5, v28, v24
	v_add_f16_e32 v24, v28, v24
	v_add_f16_e32 v22, v30, v25
	global_store_dword v[0:1], v2, off offset:72
	v_pack_b32_f16 v2, v18, v10
	global_store_dword v[0:1], v2, off offset:108
	v_pack_b32_f16 v2, v22, v24
	;; [unrolled: 2-line block ×5, first 2 shown]
	v_sub_f16_e32 v16, v30, v25
	global_store_dword v[0:1], v2, off offset:252
	v_pack_b32_f16 v2, v13, v11
	global_store_dword v[0:1], v2, off offset:288
	v_pack_b32_f16 v2, v16, v5
	global_store_dword v[0:1], v2, off offset:324
.LBB0_26:
	s_endpgm
	.section	.rodata,"a",@progbits
	.p2align	6, 0x0
	.amdhsa_kernel fft_rtc_back_len90_factors_3_3_10_wgs_63_tpt_9_halfLds_half_ip_CI_unitstride_sbrr_dirReg
		.amdhsa_group_segment_fixed_size 0
		.amdhsa_private_segment_fixed_size 0
		.amdhsa_kernarg_size 88
		.amdhsa_user_sgpr_count 6
		.amdhsa_user_sgpr_private_segment_buffer 1
		.amdhsa_user_sgpr_dispatch_ptr 0
		.amdhsa_user_sgpr_queue_ptr 0
		.amdhsa_user_sgpr_kernarg_segment_ptr 1
		.amdhsa_user_sgpr_dispatch_id 0
		.amdhsa_user_sgpr_flat_scratch_init 0
		.amdhsa_user_sgpr_private_segment_size 0
		.amdhsa_uses_dynamic_stack 0
		.amdhsa_system_sgpr_private_segment_wavefront_offset 0
		.amdhsa_system_sgpr_workgroup_id_x 1
		.amdhsa_system_sgpr_workgroup_id_y 0
		.amdhsa_system_sgpr_workgroup_id_z 0
		.amdhsa_system_sgpr_workgroup_info 0
		.amdhsa_system_vgpr_workitem_id 0
		.amdhsa_next_free_vgpr 54
		.amdhsa_next_free_sgpr 22
		.amdhsa_reserve_vcc 1
		.amdhsa_reserve_flat_scratch 0
		.amdhsa_float_round_mode_32 0
		.amdhsa_float_round_mode_16_64 0
		.amdhsa_float_denorm_mode_32 3
		.amdhsa_float_denorm_mode_16_64 3
		.amdhsa_dx10_clamp 1
		.amdhsa_ieee_mode 1
		.amdhsa_fp16_overflow 0
		.amdhsa_exception_fp_ieee_invalid_op 0
		.amdhsa_exception_fp_denorm_src 0
		.amdhsa_exception_fp_ieee_div_zero 0
		.amdhsa_exception_fp_ieee_overflow 0
		.amdhsa_exception_fp_ieee_underflow 0
		.amdhsa_exception_fp_ieee_inexact 0
		.amdhsa_exception_int_div_zero 0
	.end_amdhsa_kernel
	.text
.Lfunc_end0:
	.size	fft_rtc_back_len90_factors_3_3_10_wgs_63_tpt_9_halfLds_half_ip_CI_unitstride_sbrr_dirReg, .Lfunc_end0-fft_rtc_back_len90_factors_3_3_10_wgs_63_tpt_9_halfLds_half_ip_CI_unitstride_sbrr_dirReg
                                        ; -- End function
	.section	.AMDGPU.csdata,"",@progbits
; Kernel info:
; codeLenInByte = 5072
; NumSgprs: 26
; NumVgprs: 54
; ScratchSize: 0
; MemoryBound: 0
; FloatMode: 240
; IeeeMode: 1
; LDSByteSize: 0 bytes/workgroup (compile time only)
; SGPRBlocks: 3
; VGPRBlocks: 13
; NumSGPRsForWavesPerEU: 26
; NumVGPRsForWavesPerEU: 54
; Occupancy: 4
; WaveLimiterHint : 1
; COMPUTE_PGM_RSRC2:SCRATCH_EN: 0
; COMPUTE_PGM_RSRC2:USER_SGPR: 6
; COMPUTE_PGM_RSRC2:TRAP_HANDLER: 0
; COMPUTE_PGM_RSRC2:TGID_X_EN: 1
; COMPUTE_PGM_RSRC2:TGID_Y_EN: 0
; COMPUTE_PGM_RSRC2:TGID_Z_EN: 0
; COMPUTE_PGM_RSRC2:TIDIG_COMP_CNT: 0
	.type	__hip_cuid_be26119c85b663ca,@object ; @__hip_cuid_be26119c85b663ca
	.section	.bss,"aw",@nobits
	.globl	__hip_cuid_be26119c85b663ca
__hip_cuid_be26119c85b663ca:
	.byte	0                               ; 0x0
	.size	__hip_cuid_be26119c85b663ca, 1

	.ident	"AMD clang version 19.0.0git (https://github.com/RadeonOpenCompute/llvm-project roc-6.4.0 25133 c7fe45cf4b819c5991fe208aaa96edf142730f1d)"
	.section	".note.GNU-stack","",@progbits
	.addrsig
	.addrsig_sym __hip_cuid_be26119c85b663ca
	.amdgpu_metadata
---
amdhsa.kernels:
  - .args:
      - .actual_access:  read_only
        .address_space:  global
        .offset:         0
        .size:           8
        .value_kind:     global_buffer
      - .offset:         8
        .size:           8
        .value_kind:     by_value
      - .actual_access:  read_only
        .address_space:  global
        .offset:         16
        .size:           8
        .value_kind:     global_buffer
      - .actual_access:  read_only
        .address_space:  global
        .offset:         24
        .size:           8
        .value_kind:     global_buffer
      - .offset:         32
        .size:           8
        .value_kind:     by_value
      - .actual_access:  read_only
        .address_space:  global
        .offset:         40
        .size:           8
        .value_kind:     global_buffer
      - .actual_access:  read_only
        .address_space:  global
        .offset:         48
        .size:           8
        .value_kind:     global_buffer
      - .offset:         56
        .size:           4
        .value_kind:     by_value
      - .actual_access:  read_only
        .address_space:  global
        .offset:         64
        .size:           8
        .value_kind:     global_buffer
      - .actual_access:  read_only
        .address_space:  global
        .offset:         72
        .size:           8
        .value_kind:     global_buffer
      - .address_space:  global
        .offset:         80
        .size:           8
        .value_kind:     global_buffer
    .group_segment_fixed_size: 0
    .kernarg_segment_align: 8
    .kernarg_segment_size: 88
    .language:       OpenCL C
    .language_version:
      - 2
      - 0
    .max_flat_workgroup_size: 63
    .name:           fft_rtc_back_len90_factors_3_3_10_wgs_63_tpt_9_halfLds_half_ip_CI_unitstride_sbrr_dirReg
    .private_segment_fixed_size: 0
    .sgpr_count:     26
    .sgpr_spill_count: 0
    .symbol:         fft_rtc_back_len90_factors_3_3_10_wgs_63_tpt_9_halfLds_half_ip_CI_unitstride_sbrr_dirReg.kd
    .uniform_work_group_size: 1
    .uses_dynamic_stack: false
    .vgpr_count:     54
    .vgpr_spill_count: 0
    .wavefront_size: 64
amdhsa.target:   amdgcn-amd-amdhsa--gfx906
amdhsa.version:
  - 1
  - 2
...

	.end_amdgpu_metadata
